;; amdgpu-corpus repo=ROCm/rocFFT kind=compiled arch=gfx906 opt=O3
	.text
	.amdgcn_target "amdgcn-amd-amdhsa--gfx906"
	.amdhsa_code_object_version 6
	.protected	fft_rtc_back_len100_factors_5_5_4_wgs_100_tpt_25_sp_op_CI_CI_sbrc_xy_z_diag ; -- Begin function fft_rtc_back_len100_factors_5_5_4_wgs_100_tpt_25_sp_op_CI_CI_sbrc_xy_z_diag
	.globl	fft_rtc_back_len100_factors_5_5_4_wgs_100_tpt_25_sp_op_CI_CI_sbrc_xy_z_diag
	.p2align	8
	.type	fft_rtc_back_len100_factors_5_5_4_wgs_100_tpt_25_sp_op_CI_CI_sbrc_xy_z_diag,@function
fft_rtc_back_len100_factors_5_5_4_wgs_100_tpt_25_sp_op_CI_CI_sbrc_xy_z_diag: ; @fft_rtc_back_len100_factors_5_5_4_wgs_100_tpt_25_sp_op_CI_CI_sbrc_xy_z_diag
; %bb.0:
	s_load_dwordx8 s[8:15], s[4:5], 0x8
	v_mul_u32_u24_e32 v2, 0x290, v0
	v_lshrrev_b32_e32 v11, 16, v2
	v_mul_lo_u16_e32 v2, 0x64, v11
	v_sub_u16_e32 v12, v0, v2
	s_waitcnt lgkmcnt(0)
	s_load_dwordx4 s[0:3], s[10:11], 0x8
	v_mov_b32_e32 v4, 0
	s_waitcnt lgkmcnt(0)
	s_add_i32 s1, s2, -1
	s_lshr_b32 s1, s1, 2
	s_add_i32 s1, s1, 1
	s_mul_i32 s7, s1, s0
	v_cvt_f32_u32_e32 v1, s7
	s_load_dwordx4 s[0:3], s[12:13], 0x0
	s_load_dword s19, s[12:13], 0x10
	v_rcp_iflag_f32_e32 v1, v1
	v_mul_f32_e32 v1, 0x4f7ffffe, v1
	v_cvt_u32_f32_e32 v3, v1
	s_waitcnt lgkmcnt(0)
	v_mad_u64_u32 v[1:2], s[10:11], s0, v12, 0
	s_sub_i32 s0, 0, s7
	v_readfirstlane_b32 s3, v3
	s_mul_i32 s0, s0, s3
	s_mul_hi_u32 s0, s3, s0
	s_add_i32 s3, s3, s0
	s_mul_hi_u32 s0, s6, s3
	s_mul_i32 s3, s0, s7
	s_sub_i32 s3, s6, s3
	s_add_i32 s10, s0, 1
	s_sub_i32 s11, s3, s7
	s_cmp_ge_u32 s3, s7
	s_cselect_b32 s0, s10, s0
	s_cselect_b32 s3, s11, s3
	s_add_i32 s10, s0, 1
	s_cmp_ge_u32 s3, s7
	s_cselect_b32 s16, s10, s0
	s_mul_i32 s0, s16, s7
	s_sub_i32 s0, s6, s0
	s_mul_hi_u32 s3, s0, 0x51eb851f
	s_lshr_b32 s3, s3, 3
	s_mul_i32 s6, s3, 25
	s_sub_i32 s0, s0, s6
	s_add_i32 s3, s3, s0
	s_lshl_b32 s17, s0, 2
	s_mul_hi_u32 s0, s3, 0x51eb851f
	s_lshr_b32 s0, s0, 5
	s_mulk_i32 s0, 0x64
	s_sub_i32 s18, s3, s0
	s_mul_i32 s6, s17, s19
	s_mul_i32 s0, s18, s2
	s_lshl_b64 s[8:9], s[8:9], 3
	s_add_i32 s2, s0, s6
	s_add_u32 s6, s12, s8
	s_addc_u32 s7, s13, s9
	s_load_dwordx2 s[6:7], s[6:7], 0x0
	s_mov_b32 s3, 0
	s_load_dwordx2 s[10:11], s[4:5], 0x58
	s_waitcnt lgkmcnt(0)
	s_mul_i32 s0, s7, s16
	s_mul_hi_u32 s7, s6, s16
	s_add_i32 s7, s7, s0
	v_mad_u64_u32 v[2:3], s[0:1], s1, v12, v[2:3]
	s_mul_i32 s6, s6, s16
	s_add_u32 s8, s14, s8
	s_addc_u32 s9, s15, s9
	s_lshl_b64 s[0:1], s[6:7], 3
	s_add_u32 s6, s10, s0
	v_mul_lo_u32 v3, s19, v11
	s_addc_u32 s7, s11, s1
	s_lshl_b64 s[0:1], s[2:3], 3
	s_add_u32 s0, s6, s0
	v_lshlrev_b64 v[1:2], 3, v[1:2]
	s_addc_u32 s1, s7, s1
	v_mov_b32_e32 v5, s1
	v_add_co_u32_e32 v9, vcc, s0, v1
	v_addc_co_u32_e32 v10, vcc, v5, v2, vcc
	v_lshlrev_b64 v[1:2], 3, v[3:4]
	v_add_u32_e32 v3, s19, v3
	v_add_co_u32_e32 v1, vcc, v9, v1
	v_lshlrev_b64 v[5:6], 3, v[3:4]
	v_addc_co_u32_e32 v2, vcc, v10, v2, vcc
	v_add_u32_e32 v3, s19, v3
	v_add_co_u32_e32 v5, vcc, v9, v5
	v_lshlrev_b64 v[7:8], 3, v[3:4]
	v_addc_co_u32_e32 v6, vcc, v10, v6, vcc
	;; [unrolled: 4-line block ×3, first 2 shown]
	v_add_co_u32_e32 v3, vcc, v9, v3
	v_addc_co_u32_e32 v4, vcc, v10, v4, vcc
	global_load_dwordx2 v[9:10], v[1:2], off
	global_load_dwordx2 v[16:17], v[5:6], off
	;; [unrolled: 1-line block ×4, first 2 shown]
	v_mov_b32_e32 v1, 3
	v_mov_b32_e32 v2, 25
	v_mul_u32_u24_e32 v3, 0xa3e, v0
	v_and_b32_sdwa v1, v3, v1 dst_sel:DWORD dst_unused:UNUSED_PAD src0_sel:WORD_1 src1_sel:DWORD
	v_mul_lo_u16_sdwa v2, v3, v2 dst_sel:DWORD dst_unused:UNUSED_PAD src0_sel:WORD_1 src1_sel:DWORD
	v_mul_lo_u16_e32 v1, 0x64, v1
	v_sub_u16_e32 v13, v0, v2
	v_mul_u32_u24_e32 v3, 0x320, v11
	v_lshlrev_b32_e32 v14, 3, v1
	v_lshlrev_b32_e32 v1, 3, v13
	v_lshlrev_b32_e32 v2, 3, v12
	v_add3_u32 v12, 0, v14, v1
	v_add_u32_e32 v15, 0, v1
	v_add3_u32 v1, 0, v3, v2
	v_add_u32_e32 v2, 0x400, v1
	s_load_dwordx4 s[0:3], s[14:15], 0x0
	s_load_dwordx2 s[6:7], s[14:15], 0x10
	v_add_u32_e32 v11, v15, v14
	s_load_dwordx2 s[8:9], s[8:9], 0x0
	v_cmp_gt_u16_e32 vcc, 20, v13
	s_waitcnt vmcnt(2)
	ds_write2_b64 v1, v[9:10], v[16:17] offset1:100
	s_waitcnt vmcnt(0)
	ds_write2_b64 v2, v[18:19], v[20:21] offset0:72 offset1:172
	s_waitcnt lgkmcnt(0)
	s_barrier
	ds_read_b64 v[1:2], v12
	ds_read2_b64 v[16:19], v11 offset0:20 offset1:40
	ds_read2_b64 v[20:23], v11 offset0:60 offset1:80
	s_waitcnt lgkmcnt(0)
	s_barrier
	v_add_f32_e32 v4, v1, v16
	v_add_f32_e32 v3, v18, v20
	;; [unrolled: 1-line block ×3, first 2 shown]
	v_fma_f32 v3, -0.5, v3, v1
	v_sub_f32_e32 v6, v17, v23
	v_sub_f32_e32 v7, v16, v18
	;; [unrolled: 1-line block ×3, first 2 shown]
	v_fma_f32 v1, -0.5, v9, v1
	v_mov_b32_e32 v9, v3
	v_add_f32_e32 v4, v4, v18
	v_sub_f32_e32 v5, v19, v21
	v_add_f32_e32 v8, v7, v8
	v_fmac_f32_e32 v3, 0x3f737871, v6
	v_mov_b32_e32 v7, v1
	v_fmac_f32_e32 v9, 0xbf737871, v6
	v_add_f32_e32 v4, v4, v20
	v_fmac_f32_e32 v1, 0xbf737871, v5
	v_fmac_f32_e32 v3, 0x3f167918, v5
	;; [unrolled: 1-line block ×4, first 2 shown]
	v_add_f32_e32 v5, v4, v22
	v_add_f32_e32 v4, v2, v17
	;; [unrolled: 1-line block ×3, first 2 shown]
	v_sub_f32_e32 v10, v18, v16
	v_sub_f32_e32 v24, v20, v22
	v_add_f32_e32 v4, v4, v21
	v_add_f32_e32 v10, v10, v24
	v_fmac_f32_e32 v7, 0xbf167918, v6
	v_fmac_f32_e32 v1, 0x3f167918, v6
	v_add_f32_e32 v6, v4, v23
	v_add_f32_e32 v4, v19, v21
	v_fmac_f32_e32 v3, 0x3e9e377a, v8
	v_fmac_f32_e32 v9, 0x3e9e377a, v8
	;; [unrolled: 1-line block ×4, first 2 shown]
	v_fma_f32 v4, -0.5, v4, v2
	v_sub_f32_e32 v8, v17, v19
	v_sub_f32_e32 v10, v23, v21
	v_add_f32_e32 v8, v8, v10
	v_sub_f32_e32 v16, v16, v22
	v_mov_b32_e32 v10, v4
	v_fmac_f32_e32 v10, 0x3f737871, v16
	v_sub_f32_e32 v18, v18, v20
	v_fmac_f32_e32 v4, 0xbf737871, v16
	v_fmac_f32_e32 v10, 0x3f167918, v18
	;; [unrolled: 1-line block ×5, first 2 shown]
	v_add_f32_e32 v8, v17, v23
	v_fmac_f32_e32 v2, -0.5, v8
	v_mov_b32_e32 v8, v2
	v_fmac_f32_e32 v8, 0xbf737871, v18
	v_sub_f32_e32 v17, v19, v17
	v_sub_f32_e32 v19, v21, v23
	v_fmac_f32_e32 v2, 0x3f737871, v18
	v_fmac_f32_e32 v8, 0x3f167918, v16
	v_add_f32_e32 v17, v17, v19
	v_fmac_f32_e32 v2, 0xbf167918, v16
	v_fmac_f32_e32 v8, 0x3e9e377a, v17
	;; [unrolled: 1-line block ×3, first 2 shown]
	s_and_saveexec_b64 s[10:11], vcc
	s_cbranch_execz .LBB0_2
; %bb.1:
	v_lshlrev_b32_e32 v16, 5, v13
	v_add3_u32 v15, v15, v16, v14
	ds_write2_b64 v15, v[5:6], v[9:10] offset1:1
	ds_write2_b64 v15, v[7:8], v[1:2] offset0:2 offset1:3
	ds_write_b64 v15, v[3:4] offset:32
.LBB0_2:
	s_or_b64 exec, exec, s[10:11]
	s_load_dwordx2 s[10:11], s[4:5], 0x60
	s_load_dwordx2 s[12:13], s[4:5], 0x0
	s_waitcnt lgkmcnt(0)
	s_barrier
	s_and_saveexec_b64 s[4:5], vcc
	s_cbranch_execz .LBB0_4
; %bb.3:
	ds_read2_b64 v[1:4], v11 offset0:60 offset1:80
	ds_read2_b64 v[15:18], v11 offset0:20 offset1:40
	ds_read2_b32 v[5:6], v12 offset1:1
	s_waitcnt lgkmcnt(1)
	v_mov_b32_e32 v8, v18
	v_mov_b32_e32 v7, v17
	;; [unrolled: 1-line block ×4, first 2 shown]
.LBB0_4:
	s_or_b64 exec, exec, s[4:5]
	s_waitcnt lgkmcnt(0)
	s_barrier
	s_and_saveexec_b64 s[4:5], vcc
	s_cbranch_execz .LBB0_6
; %bb.5:
	s_movk_i32 s3, 0xcd
	v_mul_lo_u16_sdwa v15, v13, s3 dst_sel:DWORD dst_unused:UNUSED_PAD src0_sel:BYTE_0 src1_sel:DWORD
	v_lshrrev_b16_e32 v23, 10, v15
	v_mul_lo_u16_e32 v15, 5, v23
	v_sub_u16_e32 v15, v13, v15
	v_and_b32_e32 v24, 0xff, v15
	v_lshlrev_b32_e32 v25, 5, v24
	global_load_dwordx4 v[15:18], v25, s[12:13]
	global_load_dwordx4 v[19:22], v25, s[12:13] offset:16
	v_mov_b32_e32 v25, 3
	v_mul_lo_u16_e32 v23, 25, v23
	v_lshlrev_b32_sdwa v23, v25, v23 dst_sel:DWORD dst_unused:UNUSED_PAD src0_sel:DWORD src1_sel:BYTE_0
	v_lshl_add_u32 v24, v24, 3, 0
	v_add3_u32 v14, v24, v23, v14
	s_waitcnt vmcnt(1)
	v_mul_f32_e32 v24, v9, v16
	v_mul_f32_e32 v16, v10, v16
	;; [unrolled: 1-line block ×3, first 2 shown]
	s_waitcnt vmcnt(0)
	v_mul_f32_e32 v25, v1, v20
	v_mul_f32_e32 v26, v3, v22
	;; [unrolled: 1-line block ×3, first 2 shown]
	v_fma_f32 v10, v10, v15, -v24
	v_fmac_f32_e32 v16, v9, v15
	v_mul_f32_e32 v9, v8, v18
	v_mul_f32_e32 v15, v2, v20
	v_fma_f32 v8, v8, v17, -v23
	v_fma_f32 v18, v2, v19, -v25
	;; [unrolled: 1-line block ×3, first 2 shown]
	v_fmac_f32_e32 v22, v3, v21
	v_fmac_f32_e32 v9, v7, v17
	v_fmac_f32_e32 v15, v1, v19
	v_sub_f32_e32 v1, v8, v10
	v_sub_f32_e32 v2, v18, v20
	v_add_f32_e32 v3, v10, v20
	v_sub_f32_e32 v4, v9, v16
	v_sub_f32_e32 v7, v15, v22
	v_add_f32_e32 v27, v8, v18
	v_add_f32_e32 v30, v9, v15
	;; [unrolled: 1-line block ×3, first 2 shown]
	v_sub_f32_e32 v24, v10, v20
	v_sub_f32_e32 v25, v10, v8
	v_add_f32_e32 v10, v6, v10
	v_add_f32_e32 v31, v1, v2
	v_fma_f32 v2, -0.5, v3, v6
	v_add_f32_e32 v32, v4, v7
	v_fma_f32 v4, -0.5, v27, v6
	v_fma_f32 v3, -0.5, v30, v5
	v_sub_f32_e32 v17, v16, v22
	v_sub_f32_e32 v23, v8, v18
	;; [unrolled: 1-line block ×3, first 2 shown]
	v_add_f32_e32 v16, v5, v16
	v_fma_f32 v1, -0.5, v21, v5
	v_add_f32_e32 v10, v10, v8
	v_mov_b32_e32 v8, v4
	v_mov_b32_e32 v7, v3
	v_sub_f32_e32 v19, v9, v15
	v_sub_f32_e32 v26, v20, v18
	;; [unrolled: 1-line block ×3, first 2 shown]
	v_add_f32_e32 v9, v16, v9
	v_mov_b32_e32 v6, v2
	v_mov_b32_e32 v5, v1
	v_fmac_f32_e32 v8, 0x3f737871, v17
	v_fmac_f32_e32 v7, 0xbf737871, v24
	v_add_f32_e32 v21, v25, v26
	v_add_f32_e32 v25, v28, v29
	;; [unrolled: 1-line block ×4, first 2 shown]
	v_fmac_f32_e32 v2, 0x3f737871, v19
	v_fmac_f32_e32 v4, 0xbf737871, v17
	v_fmac_f32_e32 v1, 0xbf737871, v23
	v_fmac_f32_e32 v3, 0x3f737871, v24
	v_fmac_f32_e32 v6, 0xbf737871, v19
	v_fmac_f32_e32 v5, 0x3f737871, v23
	v_fmac_f32_e32 v8, 0x3f167918, v19
	v_fmac_f32_e32 v7, 0xbf167918, v23
	v_add_f32_e32 v10, v10, v20
	v_add_f32_e32 v9, v9, v22
	v_fmac_f32_e32 v2, 0xbf167918, v17
	v_fmac_f32_e32 v4, 0xbf167918, v19
	;; [unrolled: 1-line block ×14, first 2 shown]
	ds_write2_b64 v14, v[9:10], v[7:8] offset1:5
	ds_write2_b64 v14, v[5:6], v[1:2] offset0:10 offset1:15
	ds_write_b64 v14, v[3:4] offset:160
.LBB0_6:
	s_or_b64 exec, exec, s[4:5]
	v_mul_u32_u24_e32 v1, 3, v13
	v_lshlrev_b32_e32 v5, 3, v1
	s_waitcnt lgkmcnt(0)
	s_barrier
	global_load_dwordx4 v[1:4], v5, s[12:13] offset:160
	global_load_dwordx2 v[9:10], v5, s[12:13] offset:176
	s_mul_i32 s3, s1, s17
	s_mul_hi_u32 s7, s0, s17
	s_mul_i32 s9, s9, s16
	s_mul_hi_u32 s14, s8, s16
	v_and_b32_e32 v22, 3, v0
	s_mul_i32 s4, s18, s6
	s_mul_i32 s6, s8, s16
	s_add_i32 s13, s7, s3
	s_add_i32 s7, s14, s9
	v_mad_u64_u32 v[18:19], s[8:9], s0, v22, 0
	v_lshrrev_b32_e32 v20, 2, v0
	s_mul_i32 s15, s2, 25
	v_mul_lo_u32 v16, v20, s2
	s_lshl_b64 s[2:3], s[6:7], 3
	s_mul_i32 s12, s0, s17
	v_mul_u32_u24_e32 v0, 0x320, v22
	v_lshlrev_b32_e32 v20, 3, v20
	s_add_u32 s0, s10, s2
	v_add3_u32 v25, 0, v0, v20
	s_addc_u32 s6, s11, s3
	s_lshl_b64 s[2:3], s[12:13], 3
	v_mov_b32_e32 v0, v19
	s_add_u32 s2, s0, s2
	s_mov_b32 s5, 0
	ds_read2_b64 v[5:8], v11 offset0:25 offset1:50
	ds_read_b64 v[12:13], v12
	ds_read_b64 v[14:15], v11 offset:600
	s_addc_u32 s3, s6, s3
	v_mov_b32_e32 v17, 0
	s_waitcnt vmcnt(0) lgkmcnt(0)
	s_barrier
	v_lshlrev_b64 v[20:21], 3, v[16:17]
	v_add_u32_e32 v16, s15, v16
	v_mad_u64_u32 v[22:23], s[0:1], s1, v22, v[0:1]
	s_lshl_b64 s[0:1], s[4:5], 3
	s_add_u32 s0, s2, s0
	v_mov_b32_e32 v19, v22
	v_lshlrev_b64 v[18:19], 3, v[18:19]
	s_addc_u32 s1, s3, s1
	v_mov_b32_e32 v0, s1
	v_add_co_u32_e32 v18, vcc, s0, v18
	v_addc_co_u32_e32 v19, vcc, v0, v19, vcc
	v_mul_f32_e32 v0, v2, v6
	v_mul_f32_e32 v2, v2, v5
	;; [unrolled: 1-line block ×4, first 2 shown]
	v_fmac_f32_e32 v0, v1, v5
	v_fma_f32 v1, v1, v6, -v2
	v_fmac_f32_e32 v22, v3, v7
	v_fma_f32 v2, v3, v8, -v4
	v_mul_f32_e32 v3, v10, v15
	v_mul_f32_e32 v4, v10, v14
	v_fmac_f32_e32 v3, v9, v14
	v_fma_f32 v4, v9, v15, -v4
	v_sub_f32_e32 v5, v12, v22
	v_sub_f32_e32 v6, v13, v2
	;; [unrolled: 1-line block ×4, first 2 shown]
	v_fma_f32 v7, v12, 2.0, -v5
	v_fma_f32 v8, v13, 2.0, -v6
	;; [unrolled: 1-line block ×4, first 2 shown]
	v_add_f32_e32 v0, v5, v3
	v_sub_f32_e32 v1, v6, v2
	v_sub_f32_e32 v2, v7, v4
	;; [unrolled: 1-line block ×3, first 2 shown]
	v_fma_f32 v4, v5, 2.0, -v0
	v_fma_f32 v5, v6, 2.0, -v1
	;; [unrolled: 1-line block ×4, first 2 shown]
	ds_write2_b64 v11, v[2:3], v[0:1] offset0:50 offset1:75
	ds_write2_b64 v11, v[6:7], v[4:5] offset1:25
	s_waitcnt lgkmcnt(0)
	s_barrier
	ds_read2_b64 v[0:3], v25 offset1:25
	v_lshlrev_b64 v[23:24], 3, v[16:17]
	v_add_co_u32_e32 v4, vcc, v18, v20
	v_addc_co_u32_e32 v5, vcc, v19, v21, vcc
	s_waitcnt lgkmcnt(0)
	global_store_dwordx2 v[4:5], v[0:1], off
	v_add_co_u32_e32 v0, vcc, v18, v23
	v_addc_co_u32_e32 v1, vcc, v19, v24, vcc
	global_store_dwordx2 v[0:1], v[2:3], off
	v_add_u32_e32 v16, s15, v16
	ds_read2_b64 v[0:3], v25 offset0:50 offset1:75
	v_lshlrev_b64 v[4:5], 3, v[16:17]
	v_add_u32_e32 v16, s15, v16
	v_add_co_u32_e32 v4, vcc, v18, v4
	v_addc_co_u32_e32 v5, vcc, v19, v5, vcc
	s_waitcnt lgkmcnt(0)
	global_store_dwordx2 v[4:5], v[0:1], off
	v_lshlrev_b64 v[0:1], 3, v[16:17]
	v_add_co_u32_e32 v0, vcc, v18, v0
	v_addc_co_u32_e32 v1, vcc, v19, v1, vcc
	global_store_dwordx2 v[0:1], v[2:3], off
	s_endpgm
	.section	.rodata,"a",@progbits
	.p2align	6, 0x0
	.amdhsa_kernel fft_rtc_back_len100_factors_5_5_4_wgs_100_tpt_25_sp_op_CI_CI_sbrc_xy_z_diag
		.amdhsa_group_segment_fixed_size 0
		.amdhsa_private_segment_fixed_size 0
		.amdhsa_kernarg_size 104
		.amdhsa_user_sgpr_count 6
		.amdhsa_user_sgpr_private_segment_buffer 1
		.amdhsa_user_sgpr_dispatch_ptr 0
		.amdhsa_user_sgpr_queue_ptr 0
		.amdhsa_user_sgpr_kernarg_segment_ptr 1
		.amdhsa_user_sgpr_dispatch_id 0
		.amdhsa_user_sgpr_flat_scratch_init 0
		.amdhsa_user_sgpr_private_segment_size 0
		.amdhsa_uses_dynamic_stack 0
		.amdhsa_system_sgpr_private_segment_wavefront_offset 0
		.amdhsa_system_sgpr_workgroup_id_x 1
		.amdhsa_system_sgpr_workgroup_id_y 0
		.amdhsa_system_sgpr_workgroup_id_z 0
		.amdhsa_system_sgpr_workgroup_info 0
		.amdhsa_system_vgpr_workitem_id 0
		.amdhsa_next_free_vgpr 33
		.amdhsa_next_free_sgpr 20
		.amdhsa_reserve_vcc 1
		.amdhsa_reserve_flat_scratch 0
		.amdhsa_float_round_mode_32 0
		.amdhsa_float_round_mode_16_64 0
		.amdhsa_float_denorm_mode_32 3
		.amdhsa_float_denorm_mode_16_64 3
		.amdhsa_dx10_clamp 1
		.amdhsa_ieee_mode 1
		.amdhsa_fp16_overflow 0
		.amdhsa_exception_fp_ieee_invalid_op 0
		.amdhsa_exception_fp_denorm_src 0
		.amdhsa_exception_fp_ieee_div_zero 0
		.amdhsa_exception_fp_ieee_overflow 0
		.amdhsa_exception_fp_ieee_underflow 0
		.amdhsa_exception_fp_ieee_inexact 0
		.amdhsa_exception_int_div_zero 0
	.end_amdhsa_kernel
	.text
.Lfunc_end0:
	.size	fft_rtc_back_len100_factors_5_5_4_wgs_100_tpt_25_sp_op_CI_CI_sbrc_xy_z_diag, .Lfunc_end0-fft_rtc_back_len100_factors_5_5_4_wgs_100_tpt_25_sp_op_CI_CI_sbrc_xy_z_diag
                                        ; -- End function
	.section	.AMDGPU.csdata,"",@progbits
; Kernel info:
; codeLenInByte = 2252
; NumSgprs: 24
; NumVgprs: 33
; ScratchSize: 0
; MemoryBound: 0
; FloatMode: 240
; IeeeMode: 1
; LDSByteSize: 0 bytes/workgroup (compile time only)
; SGPRBlocks: 2
; VGPRBlocks: 8
; NumSGPRsForWavesPerEU: 24
; NumVGPRsForWavesPerEU: 33
; Occupancy: 7
; WaveLimiterHint : 1
; COMPUTE_PGM_RSRC2:SCRATCH_EN: 0
; COMPUTE_PGM_RSRC2:USER_SGPR: 6
; COMPUTE_PGM_RSRC2:TRAP_HANDLER: 0
; COMPUTE_PGM_RSRC2:TGID_X_EN: 1
; COMPUTE_PGM_RSRC2:TGID_Y_EN: 0
; COMPUTE_PGM_RSRC2:TGID_Z_EN: 0
; COMPUTE_PGM_RSRC2:TIDIG_COMP_CNT: 0
	.type	__hip_cuid_52e6aba337e1f234,@object ; @__hip_cuid_52e6aba337e1f234
	.section	.bss,"aw",@nobits
	.globl	__hip_cuid_52e6aba337e1f234
__hip_cuid_52e6aba337e1f234:
	.byte	0                               ; 0x0
	.size	__hip_cuid_52e6aba337e1f234, 1

	.ident	"AMD clang version 19.0.0git (https://github.com/RadeonOpenCompute/llvm-project roc-6.4.0 25133 c7fe45cf4b819c5991fe208aaa96edf142730f1d)"
	.section	".note.GNU-stack","",@progbits
	.addrsig
	.addrsig_sym __hip_cuid_52e6aba337e1f234
	.amdgpu_metadata
---
amdhsa.kernels:
  - .args:
      - .actual_access:  read_only
        .address_space:  global
        .offset:         0
        .size:           8
        .value_kind:     global_buffer
      - .offset:         8
        .size:           8
        .value_kind:     by_value
      - .actual_access:  read_only
        .address_space:  global
        .offset:         16
        .size:           8
        .value_kind:     global_buffer
      - .actual_access:  read_only
        .address_space:  global
        .offset:         24
        .size:           8
        .value_kind:     global_buffer
      - .actual_access:  read_only
        .address_space:  global
        .offset:         32
        .size:           8
        .value_kind:     global_buffer
      - .offset:         40
        .size:           8
        .value_kind:     by_value
      - .actual_access:  read_only
        .address_space:  global
        .offset:         48
        .size:           8
        .value_kind:     global_buffer
      - .actual_access:  read_only
        .address_space:  global
        .offset:         56
        .size:           8
        .value_kind:     global_buffer
      - .offset:         64
        .size:           4
        .value_kind:     by_value
      - .actual_access:  read_only
        .address_space:  global
        .offset:         72
        .size:           8
        .value_kind:     global_buffer
      - .actual_access:  read_only
        .address_space:  global
        .offset:         80
        .size:           8
        .value_kind:     global_buffer
      - .actual_access:  read_only
        .address_space:  global
        .offset:         88
        .size:           8
        .value_kind:     global_buffer
      - .actual_access:  write_only
        .address_space:  global
        .offset:         96
        .size:           8
        .value_kind:     global_buffer
    .group_segment_fixed_size: 0
    .kernarg_segment_align: 8
    .kernarg_segment_size: 104
    .language:       OpenCL C
    .language_version:
      - 2
      - 0
    .max_flat_workgroup_size: 100
    .name:           fft_rtc_back_len100_factors_5_5_4_wgs_100_tpt_25_sp_op_CI_CI_sbrc_xy_z_diag
    .private_segment_fixed_size: 0
    .sgpr_count:     24
    .sgpr_spill_count: 0
    .symbol:         fft_rtc_back_len100_factors_5_5_4_wgs_100_tpt_25_sp_op_CI_CI_sbrc_xy_z_diag.kd
    .uniform_work_group_size: 1
    .uses_dynamic_stack: false
    .vgpr_count:     33
    .vgpr_spill_count: 0
    .wavefront_size: 64
amdhsa.target:   amdgcn-amd-amdhsa--gfx906
amdhsa.version:
  - 1
  - 2
...

	.end_amdgpu_metadata
